;; amdgpu-corpus repo=ROCm/rocFFT kind=compiled arch=gfx906 opt=O3
	.text
	.amdgcn_target "amdgcn-amd-amdhsa--gfx906"
	.amdhsa_code_object_version 6
	.protected	fft_rtc_back_len1430_factors_13_11_10_wgs_143_tpt_143_sp_op_CI_CI_unitstride_sbrr_dirReg ; -- Begin function fft_rtc_back_len1430_factors_13_11_10_wgs_143_tpt_143_sp_op_CI_CI_unitstride_sbrr_dirReg
	.globl	fft_rtc_back_len1430_factors_13_11_10_wgs_143_tpt_143_sp_op_CI_CI_unitstride_sbrr_dirReg
	.p2align	8
	.type	fft_rtc_back_len1430_factors_13_11_10_wgs_143_tpt_143_sp_op_CI_CI_unitstride_sbrr_dirReg,@function
fft_rtc_back_len1430_factors_13_11_10_wgs_143_tpt_143_sp_op_CI_CI_unitstride_sbrr_dirReg: ; @fft_rtc_back_len1430_factors_13_11_10_wgs_143_tpt_143_sp_op_CI_CI_unitstride_sbrr_dirReg
; %bb.0:
	s_load_dwordx4 s[8:11], s[4:5], 0x58
	s_load_dwordx4 s[12:15], s[4:5], 0x0
	;; [unrolled: 1-line block ×3, first 2 shown]
	v_mul_u32_u24_e32 v1, 0x1cb, v0
	v_add_u32_sdwa v3, s6, v1 dst_sel:DWORD dst_unused:UNUSED_PAD src0_sel:DWORD src1_sel:WORD_1
	v_mov_b32_e32 v1, 0
	s_waitcnt lgkmcnt(0)
	v_cmp_lt_u64_e64 s[0:1], s[14:15], 2
	v_mov_b32_e32 v18, 0
	v_mov_b32_e32 v4, v1
	s_and_b64 vcc, exec, s[0:1]
	v_mov_b32_e32 v19, 0
	s_cbranch_vccnz .LBB0_8
; %bb.1:
	s_load_dwordx2 s[0:1], s[4:5], 0x10
	s_add_u32 s2, s18, 8
	s_addc_u32 s3, s19, 0
	s_add_u32 s6, s16, 8
	v_mov_b32_e32 v18, 0
	s_addc_u32 s7, s17, 0
	v_mov_b32_e32 v19, 0
	s_waitcnt lgkmcnt(0)
	s_add_u32 s20, s0, 8
	v_mov_b32_e32 v21, v19
	s_addc_u32 s21, s1, 0
	s_mov_b64 s[22:23], 1
	v_mov_b32_e32 v20, v18
.LBB0_2:                                ; =>This Inner Loop Header: Depth=1
	s_load_dwordx2 s[24:25], s[20:21], 0x0
                                        ; implicit-def: $vgpr22_vgpr23
	s_waitcnt lgkmcnt(0)
	v_or_b32_e32 v2, s25, v4
	v_cmp_ne_u64_e32 vcc, 0, v[1:2]
	s_and_saveexec_b64 s[0:1], vcc
	s_xor_b64 s[26:27], exec, s[0:1]
	s_cbranch_execz .LBB0_4
; %bb.3:                                ;   in Loop: Header=BB0_2 Depth=1
	v_cvt_f32_u32_e32 v2, s24
	v_cvt_f32_u32_e32 v5, s25
	s_sub_u32 s0, 0, s24
	s_subb_u32 s1, 0, s25
	v_mac_f32_e32 v2, 0x4f800000, v5
	v_rcp_f32_e32 v2, v2
	v_mul_f32_e32 v2, 0x5f7ffffc, v2
	v_mul_f32_e32 v5, 0x2f800000, v2
	v_trunc_f32_e32 v5, v5
	v_mac_f32_e32 v2, 0xcf800000, v5
	v_cvt_u32_f32_e32 v5, v5
	v_cvt_u32_f32_e32 v2, v2
	v_mul_lo_u32 v6, s0, v5
	v_mul_hi_u32 v7, s0, v2
	v_mul_lo_u32 v9, s1, v2
	v_mul_lo_u32 v8, s0, v2
	v_add_u32_e32 v6, v7, v6
	v_add_u32_e32 v6, v6, v9
	v_mul_hi_u32 v7, v2, v8
	v_mul_lo_u32 v9, v2, v6
	v_mul_hi_u32 v11, v2, v6
	v_mul_hi_u32 v10, v5, v8
	v_mul_lo_u32 v8, v5, v8
	v_mul_hi_u32 v12, v5, v6
	v_add_co_u32_e32 v7, vcc, v7, v9
	v_addc_co_u32_e32 v9, vcc, 0, v11, vcc
	v_mul_lo_u32 v6, v5, v6
	v_add_co_u32_e32 v7, vcc, v7, v8
	v_addc_co_u32_e32 v7, vcc, v9, v10, vcc
	v_addc_co_u32_e32 v8, vcc, 0, v12, vcc
	v_add_co_u32_e32 v6, vcc, v7, v6
	v_addc_co_u32_e32 v7, vcc, 0, v8, vcc
	v_add_co_u32_e32 v2, vcc, v2, v6
	v_addc_co_u32_e32 v5, vcc, v5, v7, vcc
	v_mul_lo_u32 v6, s0, v5
	v_mul_hi_u32 v7, s0, v2
	v_mul_lo_u32 v8, s1, v2
	v_mul_lo_u32 v9, s0, v2
	v_add_u32_e32 v6, v7, v6
	v_add_u32_e32 v6, v6, v8
	v_mul_lo_u32 v10, v2, v6
	v_mul_hi_u32 v11, v2, v9
	v_mul_hi_u32 v12, v2, v6
	v_mul_hi_u32 v8, v5, v9
	v_mul_lo_u32 v9, v5, v9
	v_mul_hi_u32 v7, v5, v6
	v_add_co_u32_e32 v10, vcc, v11, v10
	v_addc_co_u32_e32 v11, vcc, 0, v12, vcc
	v_mul_lo_u32 v6, v5, v6
	v_add_co_u32_e32 v9, vcc, v10, v9
	v_addc_co_u32_e32 v8, vcc, v11, v8, vcc
	v_addc_co_u32_e32 v7, vcc, 0, v7, vcc
	v_add_co_u32_e32 v6, vcc, v8, v6
	v_addc_co_u32_e32 v7, vcc, 0, v7, vcc
	v_add_co_u32_e32 v2, vcc, v2, v6
	v_addc_co_u32_e32 v7, vcc, v5, v7, vcc
	v_mad_u64_u32 v[5:6], s[0:1], v3, v7, 0
	v_mul_hi_u32 v8, v3, v2
	v_add_co_u32_e32 v9, vcc, v8, v5
	v_addc_co_u32_e32 v10, vcc, 0, v6, vcc
	v_mad_u64_u32 v[5:6], s[0:1], v4, v2, 0
	v_mad_u64_u32 v[7:8], s[0:1], v4, v7, 0
	v_add_co_u32_e32 v2, vcc, v9, v5
	v_addc_co_u32_e32 v2, vcc, v10, v6, vcc
	v_addc_co_u32_e32 v5, vcc, 0, v8, vcc
	v_add_co_u32_e32 v2, vcc, v2, v7
	v_addc_co_u32_e32 v7, vcc, 0, v5, vcc
	v_mul_lo_u32 v8, s25, v2
	v_mul_lo_u32 v9, s24, v7
	v_mad_u64_u32 v[5:6], s[0:1], s24, v2, 0
	v_add3_u32 v6, v6, v9, v8
	v_sub_u32_e32 v8, v4, v6
	v_mov_b32_e32 v9, s25
	v_sub_co_u32_e32 v5, vcc, v3, v5
	v_subb_co_u32_e64 v8, s[0:1], v8, v9, vcc
	v_subrev_co_u32_e64 v9, s[0:1], s24, v5
	v_subbrev_co_u32_e64 v8, s[0:1], 0, v8, s[0:1]
	v_cmp_le_u32_e64 s[0:1], s25, v8
	v_cndmask_b32_e64 v10, 0, -1, s[0:1]
	v_cmp_le_u32_e64 s[0:1], s24, v9
	v_cndmask_b32_e64 v9, 0, -1, s[0:1]
	v_cmp_eq_u32_e64 s[0:1], s25, v8
	v_cndmask_b32_e64 v8, v10, v9, s[0:1]
	v_add_co_u32_e64 v9, s[0:1], 2, v2
	v_addc_co_u32_e64 v10, s[0:1], 0, v7, s[0:1]
	v_add_co_u32_e64 v11, s[0:1], 1, v2
	v_addc_co_u32_e64 v12, s[0:1], 0, v7, s[0:1]
	v_subb_co_u32_e32 v6, vcc, v4, v6, vcc
	v_cmp_ne_u32_e64 s[0:1], 0, v8
	v_cmp_le_u32_e32 vcc, s25, v6
	v_cndmask_b32_e64 v8, v12, v10, s[0:1]
	v_cndmask_b32_e64 v10, 0, -1, vcc
	v_cmp_le_u32_e32 vcc, s24, v5
	v_cndmask_b32_e64 v5, 0, -1, vcc
	v_cmp_eq_u32_e32 vcc, s25, v6
	v_cndmask_b32_e32 v5, v10, v5, vcc
	v_cmp_ne_u32_e32 vcc, 0, v5
	v_cndmask_b32_e64 v5, v11, v9, s[0:1]
	v_cndmask_b32_e32 v23, v7, v8, vcc
	v_cndmask_b32_e32 v22, v2, v5, vcc
.LBB0_4:                                ;   in Loop: Header=BB0_2 Depth=1
	s_andn2_saveexec_b64 s[0:1], s[26:27]
	s_cbranch_execz .LBB0_6
; %bb.5:                                ;   in Loop: Header=BB0_2 Depth=1
	v_cvt_f32_u32_e32 v2, s24
	s_sub_i32 s26, 0, s24
	v_mov_b32_e32 v23, v1
	v_rcp_iflag_f32_e32 v2, v2
	v_mul_f32_e32 v2, 0x4f7ffffe, v2
	v_cvt_u32_f32_e32 v2, v2
	v_mul_lo_u32 v5, s26, v2
	v_mul_hi_u32 v5, v2, v5
	v_add_u32_e32 v2, v2, v5
	v_mul_hi_u32 v2, v3, v2
	v_mul_lo_u32 v5, v2, s24
	v_add_u32_e32 v6, 1, v2
	v_sub_u32_e32 v5, v3, v5
	v_subrev_u32_e32 v7, s24, v5
	v_cmp_le_u32_e32 vcc, s24, v5
	v_cndmask_b32_e32 v5, v5, v7, vcc
	v_cndmask_b32_e32 v2, v2, v6, vcc
	v_add_u32_e32 v6, 1, v2
	v_cmp_le_u32_e32 vcc, s24, v5
	v_cndmask_b32_e32 v22, v2, v6, vcc
.LBB0_6:                                ;   in Loop: Header=BB0_2 Depth=1
	s_or_b64 exec, exec, s[0:1]
	v_mul_lo_u32 v2, v23, s24
	v_mul_lo_u32 v7, v22, s25
	v_mad_u64_u32 v[5:6], s[0:1], v22, s24, 0
	s_load_dwordx2 s[0:1], s[6:7], 0x0
	s_load_dwordx2 s[24:25], s[2:3], 0x0
	v_add3_u32 v2, v6, v7, v2
	v_sub_co_u32_e32 v3, vcc, v3, v5
	v_subb_co_u32_e32 v2, vcc, v4, v2, vcc
	s_waitcnt lgkmcnt(0)
	v_mul_lo_u32 v4, s0, v2
	v_mul_lo_u32 v5, s1, v3
	v_mad_u64_u32 v[18:19], s[0:1], s0, v3, v[18:19]
	v_mul_lo_u32 v2, s24, v2
	v_mul_lo_u32 v6, s25, v3
	v_mad_u64_u32 v[20:21], s[0:1], s24, v3, v[20:21]
	s_add_u32 s22, s22, 1
	s_addc_u32 s23, s23, 0
	s_add_u32 s2, s2, 8
	v_add3_u32 v21, v6, v21, v2
	s_addc_u32 s3, s3, 0
	v_mov_b32_e32 v2, s14
	s_add_u32 s6, s6, 8
	v_mov_b32_e32 v3, s15
	s_addc_u32 s7, s7, 0
	v_cmp_ge_u64_e32 vcc, s[22:23], v[2:3]
	s_add_u32 s20, s20, 8
	v_add3_u32 v19, v5, v19, v4
	s_addc_u32 s21, s21, 0
	s_cbranch_vccnz .LBB0_9
; %bb.7:                                ;   in Loop: Header=BB0_2 Depth=1
	v_mov_b32_e32 v3, v22
	v_mov_b32_e32 v4, v23
	s_branch .LBB0_2
.LBB0_8:
	v_mov_b32_e32 v21, v19
	v_mov_b32_e32 v23, v4
	;; [unrolled: 1-line block ×4, first 2 shown]
.LBB0_9:
	s_lshl_b64 s[14:15], s[14:15], 3
	s_load_dwordx2 s[0:1], s[4:5], 0x28
	s_add_u32 s2, s18, s14
	s_mov_b32 s3, 0x1ca4b31
	v_mul_hi_u32 v1, v0, s3
	s_addc_u32 s3, s19, s15
	s_load_dwordx2 s[2:3], s[2:3], 0x0
	s_waitcnt lgkmcnt(0)
	v_cmp_gt_u64_e64 s[0:1], s[0:1], v[22:23]
	v_mul_u32_u24_e32 v1, 0x8f, v1
	v_sub_u32_e32 v25, v0, v1
	v_mov_b32_e32 v27, 0
	v_mov_b32_e32 v24, 0
	;; [unrolled: 1-line block ×3, first 2 shown]
                                        ; implicit-def: $vgpr33
                                        ; implicit-def: $vgpr29
                                        ; implicit-def: $vgpr15
                                        ; implicit-def: $vgpr13
                                        ; implicit-def: $vgpr7
                                        ; implicit-def: $vgpr3
                                        ; implicit-def: $vgpr35
                                        ; implicit-def: $vgpr31
                                        ; implicit-def: $vgpr17
                                        ; implicit-def: $vgpr11
                                        ; implicit-def: $vgpr9
                                        ; implicit-def: $vgpr5
	s_and_saveexec_b64 s[4:5], s[0:1]
	s_cbranch_execz .LBB0_13
; %bb.10:
	s_movk_i32 s6, 0x6e
	v_cmp_gt_u32_e32 vcc, s6, v25
	v_mov_b32_e32 v26, 0
	v_mov_b32_e32 v27, 0
                                        ; implicit-def: $vgpr4
                                        ; implicit-def: $vgpr8
                                        ; implicit-def: $vgpr10
                                        ; implicit-def: $vgpr16
                                        ; implicit-def: $vgpr30
                                        ; implicit-def: $vgpr34
                                        ; implicit-def: $vgpr2
                                        ; implicit-def: $vgpr6
                                        ; implicit-def: $vgpr12
                                        ; implicit-def: $vgpr14
                                        ; implicit-def: $vgpr28
                                        ; implicit-def: $vgpr32
	s_and_saveexec_b64 s[6:7], vcc
	s_cbranch_execz .LBB0_12
; %bb.11:
	s_add_u32 s14, s16, s14
	s_addc_u32 s15, s17, s15
	s_load_dwordx2 s[14:15], s[14:15], 0x0
	v_mov_b32_e32 v4, s9
	v_mov_b32_e32 v26, 0
	s_waitcnt lgkmcnt(0)
	v_mul_lo_u32 v2, s15, v22
	v_mul_lo_u32 v3, s14, v23
	v_mad_u64_u32 v[0:1], s[14:15], s14, v22, 0
	v_add3_u32 v1, v1, v3, v2
	v_lshlrev_b64 v[0:1], 3, v[0:1]
	v_add_co_u32_e32 v2, vcc, s8, v0
	v_addc_co_u32_e32 v3, vcc, v4, v1, vcc
	v_lshlrev_b64 v[0:1], 3, v[18:19]
	s_movk_i32 s8, 0x1000
	v_add_co_u32_e32 v2, vcc, v2, v0
	v_addc_co_u32_e32 v3, vcc, v3, v1, vcc
	v_lshlrev_b64 v[0:1], 3, v[25:26]
	v_add_co_u32_e32 v0, vcc, v2, v0
	v_addc_co_u32_e32 v1, vcc, v3, v1, vcc
	v_add_co_u32_e32 v18, vcc, s8, v0
	v_addc_co_u32_e32 v19, vcc, 0, v1, vcc
	v_add_co_u32_e32 v36, vcc, 0x2000, v0
	global_load_dwordx2 v[26:27], v[0:1], off
	global_load_dwordx2 v[32:33], v[0:1], off offset:880
	global_load_dwordx2 v[28:29], v[0:1], off offset:1760
	;; [unrolled: 1-line block ×3, first 2 shown]
	v_addc_co_u32_e32 v37, vcc, 0, v1, vcc
	global_load_dwordx2 v[12:13], v[0:1], off offset:3520
	global_load_dwordx2 v[6:7], v[18:19], off offset:304
	;; [unrolled: 1-line block ×9, first 2 shown]
.LBB0_12:
	s_or_b64 exec, exec, s[6:7]
	v_mov_b32_e32 v24, v25
.LBB0_13:
	s_or_b64 exec, exec, s[4:5]
	s_waitcnt vmcnt(11)
	v_add_f32_e32 v0, v26, v32
	s_waitcnt vmcnt(10)
	v_add_f32_e32 v0, v0, v28
	v_add_f32_e32 v1, v27, v33
	s_waitcnt vmcnt(9)
	v_add_f32_e32 v0, v0, v14
	;; [unrolled: 3-line block ×6, first 2 shown]
	s_waitcnt vmcnt(0)
	v_add_f32_e32 v18, v32, v34
	v_add_f32_e32 v1, v1, v3
	;; [unrolled: 1-line block ×3, first 2 shown]
	v_sub_f32_e32 v19, v32, v34
	v_mul_f32_e32 v32, 0x3f62ad3f, v18
	v_add_f32_e32 v1, v1, v5
	v_add_f32_e32 v0, v10, v0
	;; [unrolled: 1-line block ×3, first 2 shown]
	v_sub_f32_e32 v37, v33, v35
	v_mov_b32_e32 v33, v32
	v_add_f32_e32 v1, v9, v1
	v_add_f32_e32 v0, v16, v0
	v_fmac_f32_e32 v33, 0xbeedf032, v37
	v_add_f32_e32 v1, v11, v1
	v_add_f32_e32 v0, v30, v0
	s_mov_b32 s8, 0x3f62ad3f
	v_add_f32_e32 v38, v26, v33
	v_mul_f32_e32 v33, 0xbeedf032, v19
	v_add_f32_e32 v1, v17, v1
	v_add_f32_e32 v0, v34, v0
	v_fma_f32 v34, v36, s8, -v33
	v_add_f32_e32 v1, v31, v1
	v_add_f32_e32 v39, v27, v34
	v_mul_f32_e32 v34, 0x3f116cb1, v18
	v_add_f32_e32 v1, v35, v1
	v_mov_b32_e32 v35, v34
	v_fmac_f32_e32 v35, 0xbf52af12, v37
	s_mov_b32 s6, 0x3f116cb1
	v_add_f32_e32 v42, v26, v35
	v_mul_f32_e32 v35, 0xbf52af12, v19
	v_fma_f32 v40, v36, s6, -v35
	v_add_f32_e32 v43, v27, v40
	v_mul_f32_e32 v40, 0xbf7e222b, v37
	v_mov_b32_e32 v41, v40
	s_mov_b32 s4, 0x3df6dbef
	v_fmac_f32_e32 v41, 0x3df6dbef, v18
	v_add_f32_e32 v44, v26, v41
	v_mul_f32_e32 v41, 0xbf7e222b, v19
	v_fma_f32 v40, v18, s4, -v40
	v_fma_f32 v45, v36, s4, -v41
	v_add_f32_e32 v46, v26, v40
	v_fmac_f32_e32 v41, 0x3df6dbef, v36
	v_mul_f32_e32 v40, 0xbf6f5d39, v37
	v_add_f32_e32 v47, v27, v41
	v_mov_b32_e32 v41, v40
	s_mov_b32 s5, 0xbeb58ec6
	v_fmac_f32_e32 v41, 0xbeb58ec6, v18
	v_add_f32_e32 v48, v26, v41
	v_mul_f32_e32 v41, 0xbf6f5d39, v19
	v_fma_f32 v40, v18, s5, -v40
	v_fma_f32 v49, v36, s5, -v41
	v_add_f32_e32 v50, v26, v40
	v_fmac_f32_e32 v41, 0xbeb58ec6, v36
	v_mul_f32_e32 v40, 0xbf29c268, v37
	v_add_f32_e32 v51, v27, v41
	;; [unrolled: 11-line block ×3, first 2 shown]
	v_mov_b32_e32 v41, v40
	s_mov_b32 s9, 0xbf788fa5
	v_fmac_f32_e32 v41, 0xbf788fa5, v18
	v_mul_f32_e32 v19, 0xbe750f2a, v19
	v_add_f32_e32 v58, v28, v30
	v_add_f32_e32 v56, v26, v41
	v_fma_f32 v41, v36, s9, -v19
	v_sub_f32_e32 v28, v28, v30
	v_mul_f32_e32 v30, 0x3f116cb1, v58
	v_add_f32_e32 v57, v27, v41
	v_fma_f32 v18, v18, s9, -v40
	v_add_f32_e32 v40, v29, v31
	v_sub_f32_e32 v41, v29, v31
	v_mov_b32_e32 v29, v30
	v_fmac_f32_e32 v29, 0xbf52af12, v41
	v_mul_f32_e32 v31, 0xbf52af12, v28
	v_add_f32_e32 v29, v38, v29
	v_fma_f32 v38, v40, s6, -v31
	v_add_f32_e32 v59, v39, v38
	v_mul_f32_e32 v38, 0xbeb58ec6, v58
	v_mov_b32_e32 v39, v38
	v_fmac_f32_e32 v39, 0xbf6f5d39, v41
	v_add_f32_e32 v60, v42, v39
	v_mul_f32_e32 v39, 0xbf6f5d39, v28
	v_fma_f32 v42, v40, s5, -v39
	v_add_f32_e32 v61, v43, v42
	v_mul_f32_e32 v42, 0xbe750f2a, v41
	v_mov_b32_e32 v43, v42
	v_fmac_f32_e32 v43, 0xbf788fa5, v58
	v_add_f32_e32 v62, v44, v43
	v_mul_f32_e32 v43, 0xbe750f2a, v28
	v_fma_f32 v42, v58, s9, -v42
	v_fma_f32 v44, v40, s9, -v43
	v_add_f32_e32 v64, v46, v42
	v_fmac_f32_e32 v43, 0xbf788fa5, v40
	v_mul_f32_e32 v42, 0x3f29c268, v41
	v_add_f32_e32 v65, v47, v43
	v_mov_b32_e32 v43, v42
	v_fmac_f32_e32 v43, 0xbf3f9e67, v58
	v_add_f32_e32 v45, v27, v45
	v_add_f32_e32 v48, v48, v43
	v_mul_f32_e32 v43, 0x3f29c268, v28
	v_fma_f32 v42, v58, s7, -v42
	v_add_f32_e32 v63, v45, v44
	v_fma_f32 v44, v40, s7, -v43
	v_add_f32_e32 v50, v50, v42
	v_fmac_f32_e32 v43, 0xbf3f9e67, v40
	v_mul_f32_e32 v42, 0x3f7e222b, v41
	v_add_f32_e32 v51, v51, v43
	v_mov_b32_e32 v43, v42
	v_fmac_f32_e32 v43, 0x3df6dbef, v58
	v_add_f32_e32 v49, v27, v49
	v_add_f32_e32 v52, v52, v43
	v_mul_f32_e32 v43, 0x3f7e222b, v28
	v_fma_f32 v42, v58, s4, -v42
	v_add_f32_e32 v49, v49, v44
	v_fma_f32 v44, v40, s4, -v43
	v_add_f32_e32 v54, v54, v42
	v_fmac_f32_e32 v43, 0x3df6dbef, v40
	v_mul_f32_e32 v42, 0x3eedf032, v41
	v_add_f32_e32 v55, v55, v43
	v_mov_b32_e32 v43, v42
	v_fmac_f32_e32 v19, 0xbf788fa5, v36
	v_fmac_f32_e32 v43, 0x3f62ad3f, v58
	v_mul_f32_e32 v28, 0x3eedf032, v28
	v_add_f32_e32 v19, v27, v19
	v_add_f32_e32 v56, v56, v43
	v_fma_f32 v43, v40, s8, -v28
	v_fmac_f32_e32 v28, 0x3f62ad3f, v40
	v_add_f32_e32 v53, v27, v53
	v_add_f32_e32 v18, v26, v18
	v_fma_f32 v42, v58, s8, -v42
	v_add_f32_e32 v19, v19, v28
	v_add_f32_e32 v28, v14, v16
	v_sub_f32_e32 v14, v14, v16
	v_add_f32_e32 v53, v53, v44
	v_add_f32_e32 v57, v57, v43
	;; [unrolled: 1-line block ×4, first 2 shown]
	v_sub_f32_e32 v47, v15, v17
	v_mul_f32_e32 v42, 0x3df6dbef, v28
	v_mul_f32_e32 v43, 0xbf7e222b, v14
	;; [unrolled: 1-line block ×3, first 2 shown]
	v_mov_b32_e32 v15, v42
	v_fma_f32 v16, v46, s4, -v43
	v_mov_b32_e32 v17, v44
	v_mul_f32_e32 v58, 0x3f6f5d39, v47
	v_fmac_f32_e32 v15, 0xbf7e222b, v47
	v_add_f32_e32 v16, v59, v16
	v_fmac_f32_e32 v17, 0xbe750f2a, v47
	v_mul_f32_e32 v45, 0xbe750f2a, v14
	v_mov_b32_e32 v59, v58
	v_add_f32_e32 v15, v29, v15
	v_add_f32_e32 v17, v60, v17
	v_fma_f32 v29, v46, s9, -v45
	v_fmac_f32_e32 v59, 0xbeb58ec6, v28
	v_mul_f32_e32 v60, 0x3f6f5d39, v14
	v_add_f32_e32 v29, v61, v29
	v_add_f32_e32 v59, v62, v59
	v_fma_f32 v61, v46, s5, -v60
	v_mul_f32_e32 v62, 0x3eedf032, v47
	v_add_f32_e32 v61, v63, v61
	v_mov_b32_e32 v63, v62
	v_fmac_f32_e32 v63, 0x3f62ad3f, v28
	v_fma_f32 v58, v28, s5, -v58
	v_add_f32_e32 v63, v48, v63
	v_mul_f32_e32 v48, 0x3eedf032, v14
	v_add_f32_e32 v58, v64, v58
	v_fmac_f32_e32 v60, 0xbeb58ec6, v46
	v_fma_f32 v64, v46, s8, -v48
	v_fmac_f32_e32 v48, 0x3f62ad3f, v46
	v_add_f32_e32 v60, v65, v60
	v_add_f32_e32 v64, v49, v64
	v_fma_f32 v49, v28, s8, -v62
	v_add_f32_e32 v65, v51, v48
	v_mul_f32_e32 v48, 0xbf52af12, v47
	v_add_f32_e32 v62, v50, v49
	v_mov_b32_e32 v49, v48
	v_fmac_f32_e32 v49, 0x3f116cb1, v28
	v_add_f32_e32 v66, v52, v49
	v_mul_f32_e32 v49, 0xbf52af12, v14
	v_fma_f32 v48, v28, s6, -v48
	v_fma_f32 v50, v46, s6, -v49
	v_add_f32_e32 v54, v54, v48
	v_fmac_f32_e32 v49, 0x3f116cb1, v46
	v_mul_f32_e32 v48, 0xbf29c268, v47
	v_add_f32_e32 v55, v55, v49
	v_mov_b32_e32 v49, v48
	v_fmac_f32_e32 v49, 0xbf3f9e67, v28
	v_mul_f32_e32 v14, 0xbf29c268, v14
	v_add_f32_e32 v56, v56, v49
	v_fma_f32 v49, v46, s7, -v14
	v_fmac_f32_e32 v14, 0xbf3f9e67, v46
	v_add_f32_e32 v14, v19, v14
	v_add_f32_e32 v19, v12, v10
	v_sub_f32_e32 v10, v12, v10
	v_add_f32_e32 v67, v53, v50
	v_add_f32_e32 v57, v57, v49
	v_add_f32_e32 v52, v13, v11
	v_mul_f32_e32 v49, 0xbf6f5d39, v10
	v_mul_f32_e32 v50, 0xbf3f9e67, v19
	v_sub_f32_e32 v53, v13, v11
	v_fma_f32 v12, v52, s5, -v49
	v_mov_b32_e32 v13, v50
	v_fma_f32 v28, v28, s7, -v48
	v_mul_f32_e32 v48, 0xbeb58ec6, v19
	v_add_f32_e32 v12, v16, v12
	v_fmac_f32_e32 v13, 0x3f29c268, v53
	v_mul_f32_e32 v16, 0x3eedf032, v53
	v_mov_b32_e32 v11, v48
	v_add_f32_e32 v13, v17, v13
	v_mov_b32_e32 v17, v16
	v_fma_f32 v16, v19, s8, -v16
	v_fmac_f32_e32 v11, 0xbf6f5d39, v53
	v_mul_f32_e32 v51, 0x3f29c268, v10
	v_fmac_f32_e32 v17, 0x3f62ad3f, v19
	v_add_f32_e32 v16, v58, v16
	v_mul_f32_e32 v58, 0xbf7e222b, v53
	v_add_f32_e32 v18, v18, v28
	v_add_f32_e32 v11, v15, v11
	v_fma_f32 v15, v52, s7, -v51
	v_add_f32_e32 v17, v59, v17
	v_mul_f32_e32 v28, 0x3eedf032, v10
	v_mov_b32_e32 v59, v58
	v_add_f32_e32 v15, v29, v15
	v_fma_f32 v29, v52, s8, -v28
	v_fmac_f32_e32 v28, 0x3f62ad3f, v52
	v_fmac_f32_e32 v59, 0x3df6dbef, v19
	v_add_f32_e32 v28, v60, v28
	v_add_f32_e32 v60, v63, v59
	v_mul_f32_e32 v59, 0xbf7e222b, v10
	v_fma_f32 v58, v19, s4, -v58
	v_add_f32_e32 v29, v61, v29
	v_fma_f32 v61, v52, s4, -v59
	v_add_f32_e32 v62, v62, v58
	v_fmac_f32_e32 v59, 0x3df6dbef, v52
	v_mul_f32_e32 v58, 0x3e750f2a, v53
	v_add_f32_e32 v63, v65, v59
	v_mov_b32_e32 v59, v58
	v_fmac_f32_e32 v59, 0xbf788fa5, v19
	v_add_f32_e32 v61, v64, v61
	v_add_f32_e32 v64, v66, v59
	v_mul_f32_e32 v59, 0x3e750f2a, v10
	v_fma_f32 v58, v19, s9, -v58
	v_fma_f32 v65, v52, s9, -v59
	v_add_f32_e32 v66, v54, v58
	v_fmac_f32_e32 v59, 0xbf788fa5, v52
	v_mul_f32_e32 v54, 0x3f52af12, v53
	v_add_f32_e32 v65, v67, v65
	v_add_f32_e32 v67, v55, v59
	v_mov_b32_e32 v55, v54
	v_fmac_f32_e32 v55, 0x3f116cb1, v19
	v_mul_f32_e32 v10, 0x3f52af12, v10
	v_add_f32_e32 v68, v56, v55
	v_fma_f32 v55, v52, s6, -v10
	v_fmac_f32_e32 v10, 0x3f116cb1, v52
	v_add_f32_e32 v10, v14, v10
	v_add_f32_e32 v14, v6, v8
	v_sub_f32_e32 v6, v6, v8
	v_add_f32_e32 v69, v57, v55
	v_fma_f32 v19, v19, s6, -v54
	v_add_f32_e32 v57, v7, v9
	v_mul_f32_e32 v54, 0xbf3f9e67, v14
	v_mul_f32_e32 v55, 0xbf29c268, v6
	;; [unrolled: 1-line block ×3, first 2 shown]
	v_sub_f32_e32 v59, v7, v9
	v_mov_b32_e32 v7, v54
	v_fma_f32 v8, v57, s7, -v55
	v_mov_b32_e32 v9, v56
	v_fmac_f32_e32 v7, 0xbf29c268, v59
	v_add_f32_e32 v8, v12, v8
	v_fmac_f32_e32 v9, 0x3f7e222b, v59
	v_mul_f32_e32 v58, 0x3f7e222b, v6
	v_mul_f32_e32 v12, 0xbf52af12, v59
	v_add_f32_e32 v7, v11, v7
	v_add_f32_e32 v9, v13, v9
	v_fma_f32 v11, v57, s4, -v58
	v_mov_b32_e32 v13, v12
	v_add_f32_e32 v11, v15, v11
	v_fmac_f32_e32 v13, 0x3f116cb1, v14
	v_mul_f32_e32 v15, 0xbf52af12, v6
	v_add_f32_e32 v13, v17, v13
	v_fma_f32 v17, v57, s6, -v15
	v_fmac_f32_e32 v15, 0x3f116cb1, v57
	v_add_f32_e32 v15, v28, v15
	v_mul_f32_e32 v28, 0x3e750f2a, v6
	v_add_f32_e32 v17, v29, v17
	v_fma_f32 v29, v57, s9, -v28
	v_fmac_f32_e32 v28, 0xbf788fa5, v57
	v_fma_f32 v12, v14, s6, -v12
	v_add_f32_e32 v71, v63, v28
	v_mul_f32_e32 v28, 0x3eedf032, v59
	v_add_f32_e32 v12, v16, v12
	v_mul_f32_e32 v16, 0x3e750f2a, v59
	v_add_f32_e32 v70, v61, v29
	v_mov_b32_e32 v29, v28
	v_add_f32_e32 v18, v18, v19
	v_mov_b32_e32 v19, v16
	v_fmac_f32_e32 v29, 0x3f62ad3f, v14
	v_fmac_f32_e32 v19, 0xbf788fa5, v14
	v_add_f32_e32 v72, v64, v29
	v_mul_f32_e32 v29, 0x3eedf032, v6
	v_fma_f32 v28, v14, s8, -v28
	v_add_f32_e32 v19, v60, v19
	v_fma_f32 v60, v57, s8, -v29
	v_add_f32_e32 v66, v66, v28
	v_fmac_f32_e32 v29, 0x3f62ad3f, v57
	v_mul_f32_e32 v28, 0xbf6f5d39, v59
	v_sub_f32_e32 v76, v2, v4
	v_fma_f32 v16, v14, s9, -v16
	v_add_f32_e32 v67, v67, v29
	v_mov_b32_e32 v29, v28
	v_add_f32_e32 v61, v3, v5
	v_mul_f32_e32 v63, 0xbe750f2a, v76
	v_add_f32_e32 v16, v62, v16
	v_fmac_f32_e32 v29, 0xbeb58ec6, v14
	v_mul_f32_e32 v6, 0xbf6f5d39, v6
	v_add_f32_e32 v75, v2, v4
	v_sub_f32_e32 v62, v3, v5
	v_fma_f32 v3, v61, s9, -v63
	v_add_f32_e32 v68, v68, v29
	v_fma_f32 v29, v57, s5, -v6
	v_fmac_f32_e32 v6, 0xbeb58ec6, v57
	v_add_f32_e32 v3, v8, v3
	v_mul_f32_e32 v64, 0x3f62ad3f, v75
	v_mul_f32_e32 v8, 0xbf29c268, v62
	v_add_f32_e32 v73, v65, v60
	v_add_f32_e32 v74, v10, v6
	v_mul_f32_e32 v60, 0xbf788fa5, v75
	v_mov_b32_e32 v4, v64
	v_mov_b32_e32 v6, v8
	v_fma_f32 v8, v75, s7, -v8
	v_mul_f32_e32 v10, 0x3f52af12, v62
	v_fma_f32 v14, v14, s5, -v28
	v_mov_b32_e32 v2, v60
	v_fmac_f32_e32 v4, 0x3eedf032, v62
	v_mul_f32_e32 v65, 0x3eedf032, v76
	v_add_f32_e32 v28, v12, v8
	v_mov_b32_e32 v8, v10
	v_fmac_f32_e32 v2, 0xbe750f2a, v62
	v_add_f32_e32 v4, v9, v4
	v_fma_f32 v5, v61, s8, -v65
	v_mul_f32_e32 v9, 0xbf29c268, v76
	v_fmac_f32_e32 v8, 0x3f116cb1, v75
	v_fma_f32 v10, v75, s6, -v10
	v_mul_f32_e32 v12, 0xbf6f5d39, v62
	v_add_f32_e32 v18, v18, v14
	v_add_f32_e32 v2, v7, v2
	;; [unrolled: 1-line block ×3, first 2 shown]
	v_fmac_f32_e32 v6, 0xbf3f9e67, v75
	v_fma_f32 v7, v61, s7, -v9
	v_fmac_f32_e32 v9, 0xbf3f9e67, v61
	v_add_f32_e32 v8, v19, v8
	v_mul_f32_e32 v11, 0x3f52af12, v76
	v_add_f32_e32 v14, v16, v10
	v_mov_b32_e32 v10, v12
	v_fma_f32 v12, v75, s5, -v12
	v_mul_f32_e32 v19, 0x3f7e222b, v62
	v_add_f32_e32 v69, v69, v29
	v_add_f32_e32 v6, v13, v6
	;; [unrolled: 1-line block ×3, first 2 shown]
	v_fma_f32 v9, v61, s6, -v11
	v_fmac_f32_e32 v11, 0x3f116cb1, v61
	v_mul_f32_e32 v13, 0xbf6f5d39, v76
	v_add_f32_e32 v12, v66, v12
	v_mov_b32_e32 v16, v19
	v_mul_f32_e32 v66, 0x3f7e222b, v76
	v_add_f32_e32 v7, v17, v7
	v_add_f32_e32 v15, v71, v11
	v_fmac_f32_e32 v10, 0xbeb58ec6, v75
	v_fma_f32 v11, v61, s5, -v13
	v_fmac_f32_e32 v13, 0xbeb58ec6, v61
	v_fmac_f32_e32 v16, 0x3df6dbef, v75
	v_fma_f32 v17, v61, s4, -v66
	v_fma_f32 v19, v75, s4, -v19
	v_fmac_f32_e32 v66, 0x3df6dbef, v61
	s_movk_i32 s4, 0x6e
	v_add_f32_e32 v9, v70, v9
	v_add_f32_e32 v10, v72, v10
	;; [unrolled: 1-line block ×8, first 2 shown]
	v_cmp_gt_u32_e32 vcc, s4, v25
	s_and_saveexec_b64 s[4:5], vcc
	s_cbranch_execz .LBB0_15
; %bb.14:
	v_mul_f32_e32 v67, 0x3f62ad3f, v36
	v_mul_f32_e32 v36, 0x3f116cb1, v36
	;; [unrolled: 1-line block ×3, first 2 shown]
	v_add_f32_e32 v35, v36, v35
	v_add_f32_e32 v33, v67, v33
	v_mul_f32_e32 v71, 0x3df6dbef, v46
	v_add_f32_e32 v35, v27, v35
	v_add_f32_e32 v27, v27, v33
	;; [unrolled: 1-line block ×3, first 2 shown]
	v_mul_f32_e32 v40, 0xbeb58ec6, v40
	v_mul_f32_e32 v73, 0xbeb58ec6, v52
	v_add_f32_e32 v27, v27, v31
	v_add_f32_e32 v31, v71, v43
	v_mul_f32_e32 v46, 0xbf788fa5, v46
	v_mul_f32_e32 v75, 0xbf3f9e67, v57
	v_add_f32_e32 v36, v40, v39
	v_add_f32_e32 v27, v27, v31
	;; [unrolled: 1-line block ×3, first 2 shown]
	v_mul_f32_e32 v52, 0xbf3f9e67, v52
	v_mul_f32_e32 v77, 0xbf788fa5, v61
	v_add_f32_e32 v35, v35, v36
	v_add_f32_e32 v36, v46, v45
	;; [unrolled: 1-line block ×4, first 2 shown]
	v_mul_f32_e32 v66, 0xbeedf032, v37
	v_mul_f32_e32 v37, 0xbf52af12, v37
	;; [unrolled: 1-line block ×3, first 2 shown]
	v_add_f32_e32 v35, v35, v36
	v_add_f32_e32 v36, v52, v51
	;; [unrolled: 1-line block ×4, first 2 shown]
	v_mul_f32_e32 v68, 0xbf52af12, v41
	v_mul_f32_e32 v61, 0x3f62ad3f, v61
	v_add_f32_e32 v35, v35, v36
	v_add_f32_e32 v36, v57, v58
	v_sub_f32_e32 v34, v34, v37
	v_add_f32_e32 v27, v27, v31
	v_sub_f32_e32 v31, v32, v66
	v_mul_f32_e32 v41, 0xbf6f5d39, v41
	v_mul_f32_e32 v70, 0xbf7e222b, v47
	v_add_f32_e32 v35, v35, v36
	v_add_f32_e32 v36, v61, v65
	;; [unrolled: 1-line block ×4, first 2 shown]
	v_sub_f32_e32 v30, v30, v68
	v_mul_f32_e32 v47, 0xbe750f2a, v47
	v_mul_f32_e32 v72, 0xbf6f5d39, v53
	v_add_f32_e32 v35, v35, v36
	v_sub_f32_e32 v36, v38, v41
	v_add_f32_e32 v26, v26, v30
	v_sub_f32_e32 v30, v42, v70
	v_mul_f32_e32 v53, 0x3f29c268, v53
	v_mul_f32_e32 v74, 0xbf29c268, v59
	v_add_f32_e32 v34, v34, v36
	v_sub_f32_e32 v36, v44, v47
	v_add_f32_e32 v26, v26, v30
	;; [unrolled: 6-line block ×3, first 2 shown]
	v_sub_f32_e32 v30, v54, v74
	v_mul_f32_e32 v62, 0x3eedf032, v62
	v_add_f32_e32 v34, v34, v36
	v_sub_f32_e32 v36, v56, v59
	v_add_f32_e32 v26, v26, v30
	v_sub_f32_e32 v30, v60, v76
	s_movk_i32 s6, 0x68
	v_add_f32_e32 v34, v34, v36
	v_sub_f32_e32 v36, v64, v62
	v_add_f32_e32 v26, v26, v30
	v_mad_u32_u24 v30, v25, s6, 0
	v_add_f32_e32 v34, v34, v36
	ds_write2_b64 v30, v[0:1], v[2:3] offset1:1
	ds_write2_b64 v30, v[4:5], v[6:7] offset0:2 offset1:3
	ds_write2_b64 v30, v[8:9], v[10:11] offset0:4 offset1:5
	;; [unrolled: 1-line block ×5, first 2 shown]
	ds_write_b64 v30, v[26:27] offset:96
.LBB0_15:
	s_or_b64 exec, exec, s[4:5]
	s_movk_i32 s4, 0x82
	v_cmp_gt_u32_e32 vcc, s4, v25
	v_lshl_add_u32 v26, v25, 3, 0
	s_waitcnt lgkmcnt(0)
	s_barrier
	s_and_saveexec_b64 s[4:5], vcc
	s_cbranch_execz .LBB0_17
; %bb.16:
	v_add_u32_e32 v12, 0x1800, v26
	v_add_u32_e32 v4, 0x800, v26
	;; [unrolled: 1-line block ×3, first 2 shown]
	ds_read2_b64 v[16:19], v12 offset0:12 offset1:142
	v_add_u32_e32 v12, 0x2000, v26
	ds_read2_b64 v[0:3], v26 offset1:130
	ds_read2_b64 v[4:7], v4 offset0:4 offset1:134
	ds_read2_b64 v[8:11], v8 offset0:8 offset1:138
	;; [unrolled: 1-line block ×3, first 2 shown]
	ds_read_b64 v[28:29], v26 offset:10400
.LBB0_17:
	s_or_b64 exec, exec, s[4:5]
	s_waitcnt lgkmcnt(0)
	s_barrier
	s_and_saveexec_b64 s[4:5], vcc
	s_cbranch_execz .LBB0_19
; %bb.18:
	s_movk_i32 s6, 0x4f
	v_mul_lo_u16_sdwa v27, v25, s6 dst_sel:DWORD dst_unused:UNUSED_PAD src0_sel:BYTE_0 src1_sel:DWORD
	v_lshrrev_b16_e32 v27, 10, v27
	v_mul_lo_u16_e32 v30, 13, v27
	v_sub_u16_e32 v30, v25, v30
	v_mov_b32_e32 v31, 10
	v_mul_u32_u24_sdwa v31, v30, v31 dst_sel:DWORD dst_unused:UNUSED_PAD src0_sel:BYTE_0 src1_sel:DWORD
	v_lshlrev_b32_e32 v51, 3, v31
	global_load_dwordx4 v[31:34], v51, s[12:13]
	global_load_dwordx4 v[35:38], v51, s[12:13] offset:64
	global_load_dwordx4 v[39:42], v51, s[12:13] offset:16
	;; [unrolled: 1-line block ×4, first 2 shown]
	s_mov_b32 s6, 0xbf75a155
	s_mov_b32 s7, 0x3f575c64
	;; [unrolled: 1-line block ×5, first 2 shown]
	v_mul_u32_u24_e32 v27, 0x478, v27
	s_waitcnt vmcnt(4)
	v_mul_f32_e32 v51, v3, v32
	s_waitcnt vmcnt(3)
	v_mul_f32_e32 v52, v29, v38
	v_mul_f32_e32 v53, v5, v34
	;; [unrolled: 1-line block ×5, first 2 shown]
	v_fmac_f32_e32 v51, v2, v31
	v_fmac_f32_e32 v52, v28, v37
	v_mul_f32_e32 v38, v28, v38
	v_mul_f32_e32 v32, v2, v32
	s_waitcnt vmcnt(2)
	v_mul_f32_e32 v55, v7, v40
	s_waitcnt vmcnt(1)
	v_mul_f32_e32 v56, v13, v46
	v_fmac_f32_e32 v53, v4, v33
	v_fmac_f32_e32 v54, v14, v35
	v_fma_f32 v14, v15, v35, -v36
	v_fma_f32 v15, v5, v33, -v34
	v_sub_f32_e32 v33, v51, v52
	v_mul_f32_e32 v57, v9, v42
	v_mul_f32_e32 v58, v19, v44
	v_fma_f32 v28, v29, v37, -v38
	v_fma_f32 v29, v3, v31, -v32
	v_fmac_f32_e32 v55, v6, v39
	v_fmac_f32_e32 v56, v12, v45
	v_sub_f32_e32 v34, v53, v54
	v_mul_f32_e32 v4, 0xbe903f40, v33
	v_mul_f32_e32 v46, v12, v46
	;; [unrolled: 1-line block ×3, first 2 shown]
	s_waitcnt vmcnt(0)
	v_mul_f32_e32 v59, v11, v48
	v_mul_f32_e32 v60, v17, v50
	v_fmac_f32_e32 v57, v8, v41
	v_fmac_f32_e32 v58, v18, v43
	v_add_f32_e32 v12, v29, v28
	v_sub_f32_e32 v35, v55, v56
	v_mul_f32_e32 v5, 0x3f0a6770, v34
	v_mov_b32_e32 v2, v4
	v_mul_f32_e32 v44, v18, v44
	v_mul_f32_e32 v42, v8, v42
	;; [unrolled: 1-line block ×4, first 2 shown]
	v_fma_f32 v31, v13, v45, -v46
	v_fma_f32 v32, v7, v39, -v40
	v_fmac_f32_e32 v59, v10, v47
	v_fmac_f32_e32 v60, v16, v49
	v_add_f32_e32 v13, v15, v14
	v_sub_f32_e32 v37, v57, v58
	v_mul_f32_e32 v6, 0xbf4178ce, v35
	v_mov_b32_e32 v3, v5
	v_fmac_f32_e32 v2, 0xbf75a155, v12
	v_fma_f32 v18, v19, v43, -v44
	v_fma_f32 v19, v9, v41, -v42
	;; [unrolled: 1-line block ×4, first 2 shown]
	v_add_f32_e32 v36, v32, v31
	v_sub_f32_e32 v39, v59, v60
	v_mul_f32_e32 v7, 0x3f68dda4, v37
	v_mov_b32_e32 v11, v6
	v_fmac_f32_e32 v3, 0x3f575c64, v13
	v_add_f32_e32 v2, v1, v2
	v_add_f32_e32 v38, v19, v18
	v_mul_f32_e32 v8, 0xbf7d64f0, v39
	v_mov_b32_e32 v45, v7
	v_fmac_f32_e32 v11, 0xbf27a4f4, v36
	v_add_f32_e32 v2, v3, v2
	v_add_f32_e32 v40, v17, v16
	v_sub_f32_e32 v42, v29, v28
	v_mov_b32_e32 v46, v8
	v_fmac_f32_e32 v45, 0x3ed4b147, v38
	v_add_f32_e32 v2, v11, v2
	v_fma_f32 v4, v12, s6, -v4
	v_add_f32_e32 v41, v51, v52
	v_sub_f32_e32 v44, v15, v14
	v_mul_f32_e32 v9, 0xbe903f40, v42
	v_fmac_f32_e32 v46, 0xbe11bafb, v40
	v_add_f32_e32 v2, v45, v2
	v_add_f32_e32 v4, v1, v4
	v_fma_f32 v5, v13, s7, -v5
	v_add_f32_e32 v43, v53, v54
	v_mul_f32_e32 v10, 0x3f0a6770, v44
	v_fma_f32 v47, v41, s6, -v9
	v_add_f32_e32 v3, v46, v2
	v_sub_f32_e32 v46, v32, v31
	v_add_f32_e32 v4, v5, v4
	v_fma_f32 v5, v36, s8, -v6
	v_fma_f32 v48, v43, s7, -v10
	v_add_f32_e32 v47, v0, v47
	v_add_f32_e32 v45, v55, v56
	v_mul_f32_e32 v11, 0xbf4178ce, v46
	v_add_f32_e32 v4, v5, v4
	v_fma_f32 v5, v38, s9, -v7
	v_add_f32_e32 v47, v48, v47
	v_fma_f32 v2, v45, s8, -v11
	v_sub_f32_e32 v48, v19, v18
	v_add_f32_e32 v4, v5, v4
	v_fma_f32 v5, v40, s14, -v8
	v_fmac_f32_e32 v9, 0xbf75a155, v41
	v_add_f32_e32 v2, v2, v47
	v_add_f32_e32 v47, v57, v58
	v_mul_f32_e32 v49, 0x3f68dda4, v48
	v_add_f32_e32 v5, v5, v4
	v_add_f32_e32 v4, v0, v9
	v_fmac_f32_e32 v10, 0x3f575c64, v43
	v_fma_f32 v50, v47, s9, -v49
	v_sub_f32_e32 v61, v17, v16
	v_add_f32_e32 v4, v10, v4
	v_fmac_f32_e32 v11, 0xbf27a4f4, v45
	v_add_f32_e32 v2, v50, v2
	v_add_f32_e32 v50, v59, v60
	v_mul_f32_e32 v62, 0xbf7d64f0, v61
	v_add_f32_e32 v4, v11, v4
	v_fmac_f32_e32 v49, 0x3ed4b147, v47
	v_fma_f32 v63, v50, s14, -v62
	v_add_f32_e32 v4, v49, v4
	v_fmac_f32_e32 v62, 0xbe11bafb, v50
	v_mul_f32_e32 v49, 0xbf27a4f4, v12
	v_add_f32_e32 v4, v62, v4
	v_mov_b32_e32 v6, v49
	v_mul_f32_e32 v62, 0xbe11bafb, v13
	v_fmac_f32_e32 v6, 0x3f4178ce, v33
	v_mov_b32_e32 v7, v62
	v_add_f32_e32 v2, v63, v2
	v_add_f32_e32 v6, v1, v6
	v_fmac_f32_e32 v7, 0xbf7d64f0, v34
	v_mul_f32_e32 v63, 0x3f575c64, v36
	v_add_f32_e32 v6, v7, v6
	v_mov_b32_e32 v7, v63
	v_fmac_f32_e32 v7, 0x3f0a6770, v35
	v_mul_f32_e32 v64, 0xbf75a155, v38
	v_add_f32_e32 v6, v7, v6
	v_mov_b32_e32 v7, v64
	v_fmac_f32_e32 v7, 0x3e903f40, v37
	v_mul_f32_e32 v65, 0x3ed4b147, v40
	v_add_f32_e32 v6, v7, v6
	v_mov_b32_e32 v7, v65
	v_fmac_f32_e32 v7, 0xbf68dda4, v39
	v_mul_f32_e32 v66, 0xbf4178ce, v42
	v_add_f32_e32 v7, v7, v6
	v_mov_b32_e32 v6, v66
	v_mul_f32_e32 v67, 0x3f7d64f0, v44
	v_fmac_f32_e32 v6, 0xbf27a4f4, v41
	v_mov_b32_e32 v8, v67
	v_add_f32_e32 v6, v0, v6
	v_fmac_f32_e32 v8, 0xbe11bafb, v43
	v_mul_f32_e32 v68, 0xbf0a6770, v46
	v_add_f32_e32 v6, v8, v6
	v_mov_b32_e32 v8, v68
	v_fmac_f32_e32 v8, 0x3f575c64, v45
	v_mul_f32_e32 v69, 0xbe903f40, v48
	v_add_f32_e32 v6, v8, v6
	v_mov_b32_e32 v8, v69
	;; [unrolled: 4-line block ×4, first 2 shown]
	v_mul_f32_e32 v72, 0xbf75a155, v13
	v_fmac_f32_e32 v8, 0x3f7d64f0, v33
	v_mov_b32_e32 v9, v72
	v_add_f32_e32 v8, v1, v8
	v_fmac_f32_e32 v9, 0xbe903f40, v34
	v_mul_f32_e32 v73, 0x3ed4b147, v36
	v_add_f32_e32 v8, v9, v8
	v_mov_b32_e32 v9, v73
	v_fmac_f32_e32 v9, 0xbf68dda4, v35
	v_mul_f32_e32 v74, 0x3f575c64, v38
	v_add_f32_e32 v8, v9, v8
	v_mov_b32_e32 v9, v74
	v_fmac_f32_e32 v9, 0x3f0a6770, v37
	v_mul_f32_e32 v75, 0xbf7d64f0, v42
	v_add_f32_e32 v29, v1, v29
	v_add_f32_e32 v8, v9, v8
	v_mov_b32_e32 v9, v75
	v_mul_f32_e32 v76, 0x3e903f40, v44
	v_add_f32_e32 v15, v29, v15
	v_fmac_f32_e32 v9, 0xbe11bafb, v41
	v_mov_b32_e32 v10, v76
	v_add_f32_e32 v15, v15, v32
	v_add_f32_e32 v9, v0, v9
	v_fmac_f32_e32 v10, 0xbf75a155, v43
	v_mul_f32_e32 v77, 0x3f68dda4, v46
	v_add_f32_e32 v15, v15, v19
	v_add_f32_e32 v9, v10, v9
	v_mov_b32_e32 v10, v77
	v_add_f32_e32 v15, v15, v17
	v_fmac_f32_e32 v10, 0x3ed4b147, v45
	v_mul_f32_e32 v78, 0xbf0a6770, v48
	v_add_f32_e32 v15, v15, v16
	v_add_f32_e32 v9, v10, v9
	v_mov_b32_e32 v10, v78
	;; [unrolled: 6-line block ×3, first 2 shown]
	v_add_f32_e32 v14, v15, v14
	v_add_f32_e32 v15, v0, v51
	v_fmac_f32_e32 v9, 0x3f4178ce, v39
	v_mul_f32_e32 v80, 0xbf4178ce, v61
	v_add_f32_e32 v15, v15, v53
	v_add_f32_e32 v9, v9, v8
	v_mov_b32_e32 v8, v80
	v_add_f32_e32 v15, v15, v55
	v_fmac_f32_e32 v8, 0xbf27a4f4, v50
	v_mul_f32_e32 v81, 0x3ed4b147, v12
	v_add_f32_e32 v15, v15, v57
	v_add_f32_e32 v8, v8, v10
	v_mov_b32_e32 v10, v81
	v_mul_f32_e32 v82, 0xbf27a4f4, v13
	v_add_f32_e32 v15, v15, v59
	v_fmac_f32_e32 v10, 0x3f68dda4, v33
	v_mov_b32_e32 v11, v82
	v_add_f32_e32 v15, v15, v60
	v_add_f32_e32 v10, v1, v10
	v_fmac_f32_e32 v11, 0x3f4178ce, v34
	v_mul_f32_e32 v83, 0xbf75a155, v36
	v_add_f32_e32 v15, v15, v58
	v_add_f32_e32 v10, v11, v10
	v_mov_b32_e32 v11, v83
	v_add_f32_e32 v15, v15, v56
	v_fmac_f32_e32 v11, 0xbe903f40, v35
	v_mul_f32_e32 v84, 0xbe11bafb, v38
	v_add_f32_e32 v16, v15, v54
	v_fmac_f32_e32 v49, 0xbf4178ce, v33
	v_add_f32_e32 v10, v11, v10
	v_mov_b32_e32 v11, v84
	v_add_f32_e32 v15, v14, v28
	v_add_f32_e32 v14, v16, v52
	;; [unrolled: 1-line block ×3, first 2 shown]
	v_fmac_f32_e32 v62, 0x3f7d64f0, v34
	v_fmac_f32_e32 v11, 0xbf7d64f0, v37
	v_mul_f32_e32 v85, 0xbf68dda4, v42
	v_add_f32_e32 v16, v62, v16
	v_fmac_f32_e32 v63, 0xbf0a6770, v35
	v_add_f32_e32 v10, v11, v10
	v_mov_b32_e32 v11, v85
	v_mul_f32_e32 v86, 0xbf4178ce, v44
	v_add_f32_e32 v16, v63, v16
	v_fmac_f32_e32 v64, 0xbe903f40, v37
	v_fmac_f32_e32 v11, 0x3ed4b147, v41
	v_mov_b32_e32 v87, v86
	v_add_f32_e32 v16, v64, v16
	v_fmac_f32_e32 v65, 0x3f68dda4, v39
	v_add_f32_e32 v11, v0, v11
	v_fmac_f32_e32 v87, 0xbf27a4f4, v43
	v_add_f32_e32 v17, v65, v16
	v_fma_f32 v16, v41, s8, -v66
	v_add_f32_e32 v11, v87, v11
	v_mul_f32_e32 v87, 0x3e903f40, v46
	v_add_f32_e32 v16, v0, v16
	v_fma_f32 v18, v43, s14, -v67
	v_mov_b32_e32 v88, v87
	v_add_f32_e32 v16, v18, v16
	v_fma_f32 v18, v45, s7, -v68
	v_fmac_f32_e32 v88, 0xbf75a155, v45
	v_add_f32_e32 v16, v18, v16
	v_fma_f32 v18, v47, s6, -v69
	v_add_f32_e32 v11, v88, v11
	v_mul_f32_e32 v88, 0x3f7d64f0, v48
	v_add_f32_e32 v16, v18, v16
	v_fma_f32 v18, v50, s9, -v70
	v_fmac_f32_e32 v71, 0xbf7d64f0, v33
	v_mov_b32_e32 v89, v88
	v_add_f32_e32 v16, v18, v16
	v_add_f32_e32 v18, v1, v71
	v_fmac_f32_e32 v72, 0x3e903f40, v34
	v_fmac_f32_e32 v89, 0xbe11bafb, v47
	v_mul_f32_e32 v90, 0x3f575c64, v40
	v_add_f32_e32 v18, v72, v18
	v_fmac_f32_e32 v73, 0x3f68dda4, v35
	v_add_f32_e32 v89, v89, v11
	v_mov_b32_e32 v11, v90
	v_add_f32_e32 v18, v73, v18
	v_fmac_f32_e32 v74, 0xbf0a6770, v37
	v_fmac_f32_e32 v11, 0xbf0a6770, v39
	v_mul_f32_e32 v91, 0x3f0a6770, v61
	v_add_f32_e32 v18, v74, v18
	v_fmac_f32_e32 v79, 0xbf4178ce, v39
	v_add_f32_e32 v11, v11, v10
	v_mov_b32_e32 v10, v91
	v_add_f32_e32 v19, v79, v18
	v_fma_f32 v18, v41, s14, -v75
	v_fmac_f32_e32 v10, 0x3f575c64, v50
	v_add_f32_e32 v18, v0, v18
	v_fma_f32 v28, v43, s6, -v76
	v_add_f32_e32 v10, v10, v89
	v_mul_f32_e32 v89, 0x3f575c64, v12
	v_add_f32_e32 v18, v28, v18
	v_fma_f32 v28, v45, s9, -v77
	v_mov_b32_e32 v12, v89
	v_mul_f32_e32 v92, 0x3ed4b147, v13
	v_add_f32_e32 v18, v28, v18
	v_fma_f32 v28, v47, s7, -v78
	v_fmac_f32_e32 v12, 0x3f0a6770, v33
	v_mov_b32_e32 v13, v92
	v_add_f32_e32 v18, v28, v18
	v_fma_f32 v28, v50, s8, -v80
	v_fmac_f32_e32 v81, 0xbf68dda4, v33
	v_add_f32_e32 v12, v1, v12
	v_fmac_f32_e32 v13, 0x3f68dda4, v34
	v_mul_f32_e32 v36, 0xbe11bafb, v36
	v_add_f32_e32 v18, v28, v18
	v_add_f32_e32 v28, v1, v81
	v_fmac_f32_e32 v82, 0xbf4178ce, v34
	v_add_f32_e32 v12, v13, v12
	v_mov_b32_e32 v13, v36
	v_add_f32_e32 v28, v82, v28
	v_fmac_f32_e32 v83, 0x3e903f40, v35
	v_fmac_f32_e32 v13, 0x3f7d64f0, v35
	v_mul_f32_e32 v38, 0xbf27a4f4, v38
	v_add_f32_e32 v28, v83, v28
	v_fmac_f32_e32 v84, 0x3f7d64f0, v37
	v_add_f32_e32 v12, v13, v12
	v_mov_b32_e32 v13, v38
	v_add_f32_e32 v28, v84, v28
	v_fmac_f32_e32 v90, 0x3f0a6770, v39
	v_fmac_f32_e32 v13, 0x3f4178ce, v37
	v_mul_f32_e32 v42, 0xbf0a6770, v42
	v_add_f32_e32 v29, v90, v28
	v_fma_f32 v28, v41, s9, -v85
	v_add_f32_e32 v12, v13, v12
	v_mov_b32_e32 v13, v42
	v_mul_f32_e32 v44, 0xbf68dda4, v44
	v_add_f32_e32 v28, v0, v28
	v_fma_f32 v31, v43, s8, -v86
	v_fmac_f32_e32 v13, 0x3f575c64, v41
	v_mov_b32_e32 v93, v44
	v_add_f32_e32 v28, v31, v28
	v_fma_f32 v31, v45, s6, -v87
	v_add_f32_e32 v13, v0, v13
	v_fmac_f32_e32 v93, 0x3ed4b147, v43
	v_mul_f32_e32 v46, 0xbf7d64f0, v46
	v_add_f32_e32 v28, v31, v28
	v_fma_f32 v31, v47, s14, -v88
	v_add_f32_e32 v13, v93, v13
	v_mov_b32_e32 v93, v46
	v_add_f32_e32 v28, v31, v28
	v_fma_f32 v31, v50, s7, -v91
	v_fmac_f32_e32 v93, 0xbe11bafb, v45
	v_mul_f32_e32 v48, 0xbf4178ce, v48
	v_add_f32_e32 v28, v31, v28
	v_fma_f32 v31, v41, s7, -v42
	v_add_f32_e32 v13, v93, v13
	v_mov_b32_e32 v93, v48
	v_add_f32_e32 v0, v0, v31
	v_fma_f32 v31, v43, s9, -v44
	v_fmac_f32_e32 v93, 0xbf27a4f4, v47
	v_mul_f32_e32 v40, 0xbf75a155, v40
	v_add_f32_e32 v0, v31, v0
	v_fma_f32 v31, v45, s14, -v46
	v_add_f32_e32 v93, v93, v13
	v_mov_b32_e32 v13, v40
	v_mul_f32_e32 v61, 0xbe903f40, v61
	v_fmac_f32_e32 v89, 0xbf0a6770, v33
	v_add_f32_e32 v0, v31, v0
	v_fma_f32 v31, v47, s8, -v48
	v_fmac_f32_e32 v13, 0x3e903f40, v39
	v_add_f32_e32 v1, v1, v89
	v_fmac_f32_e32 v92, 0xbf68dda4, v34
	v_add_f32_e32 v0, v31, v0
	v_fma_f32 v31, v50, s6, -v61
	v_add_f32_e32 v13, v13, v12
	v_mov_b32_e32 v12, v61
	v_add_f32_e32 v1, v92, v1
	v_fmac_f32_e32 v36, 0xbf7d64f0, v35
	v_add_f32_e32 v0, v31, v0
	v_mov_b32_e32 v31, 3
	v_fmac_f32_e32 v12, 0xbf75a155, v50
	v_add_f32_e32 v1, v36, v1
	v_fmac_f32_e32 v38, 0xbf4178ce, v37
	v_lshlrev_b32_sdwa v30, v31, v30 dst_sel:DWORD dst_unused:UNUSED_PAD src0_sel:DWORD src1_sel:BYTE_0
	v_add_f32_e32 v12, v12, v93
	v_add_f32_e32 v1, v38, v1
	v_fmac_f32_e32 v40, 0xbe903f40, v39
	v_add3_u32 v27, 0, v27, v30
	v_add_f32_e32 v1, v40, v1
	ds_write2_b64 v27, v[14:15], v[12:13] offset1:13
	ds_write2_b64 v27, v[10:11], v[8:9] offset0:26 offset1:39
	ds_write2_b64 v27, v[6:7], v[4:5] offset0:52 offset1:65
	;; [unrolled: 1-line block ×4, first 2 shown]
	ds_write_b64 v27, v[0:1] offset:1040
.LBB0_19:
	s_or_b64 exec, exec, s[4:5]
	s_waitcnt lgkmcnt(0)
	s_barrier
	s_and_saveexec_b64 s[4:5], s[0:1]
	s_cbranch_execz .LBB0_21
; %bb.20:
	v_mul_u32_u24_e32 v0, 9, v25
	v_lshlrev_b32_e32 v16, 3, v0
	global_load_dwordx4 v[0:3], v16, s[12:13] offset:1040
	global_load_dwordx4 v[4:7], v16, s[12:13] offset:1056
	;; [unrolled: 1-line block ×4, first 2 shown]
	global_load_dwordx2 v[41:42], v16, s[12:13] offset:1104
	v_add_u32_e32 v25, 0x800, v26
	v_add_u32_e32 v29, 0x1000, v26
	;; [unrolled: 1-line block ×4, first 2 shown]
	ds_read2_b64 v[16:19], v26 offset1:143
	ds_read2_b64 v[25:28], v25 offset0:30 offset1:173
	ds_read2_b64 v[29:32], v29 offset0:60 offset1:203
	ds_read2_b64 v[33:36], v33 offset0:56 offset1:199
	ds_read2_b64 v[37:40], v37 offset0:90 offset1:233
	v_mul_lo_u32 v43, s3, v22
	v_mul_lo_u32 v44, s2, v23
	v_mad_u64_u32 v[22:23], s[0:1], s2, v22, 0
	v_lshlrev_b64 v[20:21], 3, v[20:21]
	s_movk_i32 s0, 0x1000
	v_add3_u32 v23, v23, v44, v43
	v_lshlrev_b64 v[22:23], 3, v[22:23]
	v_add_co_u32_e32 v22, vcc, s10, v22
	s_waitcnt vmcnt(4) lgkmcnt(3)
	v_mul_f32_e32 v43, v3, v25
	s_waitcnt vmcnt(3) lgkmcnt(2)
	v_mul_f32_e32 v44, v7, v29
	;; [unrolled: 2-line block ×4, first 2 shown]
	v_mul_f32_e32 v47, v3, v26
	v_mul_f32_e32 v33, v10, v33
	;; [unrolled: 1-line block ×8, first 2 shown]
	s_waitcnt vmcnt(0)
	v_mul_f32_e32 v5, v35, v42
	v_mul_f32_e32 v7, v13, v31
	;; [unrolled: 1-line block ×3, first 2 shown]
	v_fma_f32 v13, v2, v26, -v43
	v_fma_f32 v26, v6, v30, -v44
	;; [unrolled: 1-line block ×4, first 2 shown]
	v_fmac_f32_e32 v47, v2, v25
	v_fmac_f32_e32 v49, v4, v27
	;; [unrolled: 1-line block ×3, first 2 shown]
	v_fma_f32 v2, v4, v28, -v3
	v_fma_f32 v4, v41, v36, -v5
	;; [unrolled: 1-line block ×3, first 2 shown]
	v_sub_f32_e32 v1, v13, v26
	v_sub_f32_e32 v3, v10, v14
	v_add_f32_e32 v5, v26, v14
	v_mul_f32_e32 v51, v42, v36
	v_mul_f32_e32 v52, v9, v40
	v_fmac_f32_e32 v48, v6, v29
	v_fmac_f32_e32 v50, v12, v31
	v_fma_f32 v6, v12, v32, -v7
	v_add_f32_e32 v31, v1, v3
	v_fma_f32 v32, -0.5, v5, v17
	v_sub_f32_e32 v3, v26, v13
	v_sub_f32_e32 v5, v14, v10
	v_fmac_f32_e32 v51, v41, v35
	v_fmac_f32_e32 v52, v8, v39
	v_add_f32_e32 v5, v3, v5
	v_add_f32_e32 v3, v13, v10
	v_mul_f32_e32 v9, v39, v9
	v_fma_f32 v36, -0.5, v3, v17
	v_sub_f32_e32 v3, v50, v49
	v_sub_f32_e32 v39, v52, v51
	v_fma_f32 v8, v8, v40, -v9
	v_add_f32_e32 v39, v3, v39
	v_add_f32_e32 v3, v49, v51
	v_fma_f32 v40, -0.5, v3, v53
	v_sub_f32_e32 v3, v6, v2
	v_sub_f32_e32 v42, v8, v4
	v_fmac_f32_e32 v33, v34, v11
	v_fmac_f32_e32 v37, v38, v15
	v_sub_f32_e32 v11, v49, v50
	v_sub_f32_e32 v12, v51, v52
	v_add_f32_e32 v15, v50, v52
	v_sub_f32_e32 v25, v2, v6
	v_sub_f32_e32 v27, v4, v8
	v_add_f32_e32 v28, v6, v8
	v_add_f32_e32 v42, v3, v42
	;; [unrolled: 1-line block ×4, first 2 shown]
	v_fma_f32 v12, -0.5, v15, v53
	v_add_f32_e32 v15, v25, v27
	v_fma_f32 v25, -0.5, v28, v0
	v_fma_f32 v43, -0.5, v3, v0
	v_add_f32_e32 v0, v2, v0
	v_sub_f32_e32 v7, v47, v33
	v_sub_f32_e32 v30, v50, v52
	v_mov_b32_e32 v27, v32
	v_mov_b32_e32 v44, v43
	v_add_f32_e32 v0, v6, v0
	v_sub_f32_e32 v9, v48, v37
	v_sub_f32_e32 v29, v49, v51
	v_mov_b32_e32 v34, v25
	v_fmac_f32_e32 v27, 0xbf737871, v7
	v_mov_b32_e32 v38, v36
	v_fmac_f32_e32 v44, 0x3f737871, v30
	v_fmac_f32_e32 v43, 0xbf737871, v30
	;; [unrolled: 1-line block ×3, first 2 shown]
	v_add_f32_e32 v0, v8, v0
	v_sub_f32_e32 v18, v2, v4
	v_mov_b32_e32 v28, v12
	v_fmac_f32_e32 v34, 0xbf737871, v29
	v_fmac_f32_e32 v27, 0xbf167918, v9
	;; [unrolled: 1-line block ×8, first 2 shown]
	v_add_f32_e32 v9, v13, v17
	v_add_f32_e32 v29, v4, v0
	v_sub_f32_e32 v0, v47, v48
	v_sub_f32_e32 v2, v33, v37
	;; [unrolled: 1-line block ×3, first 2 shown]
	v_fmac_f32_e32 v28, 0x3f737871, v18
	v_fmac_f32_e32 v34, 0xbf167918, v30
	;; [unrolled: 1-line block ×3, first 2 shown]
	v_add_f32_e32 v9, v26, v9
	v_add_f32_e32 v6, v0, v2
	;; [unrolled: 1-line block ×3, first 2 shown]
	v_sub_f32_e32 v2, v48, v47
	v_sub_f32_e32 v4, v37, v33
	v_fmac_f32_e32 v28, 0x3f167918, v19
	v_fmac_f32_e32 v34, 0x3e9e377a, v15
	v_mov_b32_e32 v41, v40
	v_fmac_f32_e32 v12, 0xbf167918, v19
	v_fmac_f32_e32 v25, 0x3f167918, v30
	v_add_f32_e32 v9, v14, v9
	v_fma_f32 v30, -0.5, v0, v16
	v_add_f32_e32 v4, v2, v4
	v_add_f32_e32 v2, v47, v33
	v_fmac_f32_e32 v28, 0x3e9e377a, v11
	v_mul_f32_e32 v35, 0xbf4f1bbd, v34
	v_fmac_f32_e32 v41, 0xbf737871, v19
	v_fmac_f32_e32 v40, 0x3f737871, v19
	;; [unrolled: 1-line block ×3, first 2 shown]
	v_add_f32_e32 v19, v10, v9
	v_sub_f32_e32 v8, v13, v10
	v_mov_b32_e32 v10, v30
	v_sub_f32_e32 v11, v26, v14
	v_mul_f32_e32 v14, 0xbf167918, v34
	v_fma_f32 v26, -0.5, v2, v16
	v_fmac_f32_e32 v35, 0x3f167918, v28
	v_fmac_f32_e32 v40, 0xbf167918, v18
	;; [unrolled: 1-line block ×5, first 2 shown]
	v_mov_b32_e32 v28, v26
	v_fmac_f32_e32 v26, 0x3f737871, v11
	v_fmac_f32_e32 v40, 0x3e9e377a, v39
	;; [unrolled: 1-line block ×5, first 2 shown]
	v_mul_f32_e32 v34, 0xbf737871, v43
	v_fmac_f32_e32 v25, 0x3e9e377a, v15
	v_fmac_f32_e32 v10, 0x3e9e377a, v6
	v_fmac_f32_e32 v28, 0x3f167918, v8
	v_fmac_f32_e32 v26, 0x3e9e377a, v4
	v_fmac_f32_e32 v34, 0x3e9e377a, v40
	v_fmac_f32_e32 v30, 0xbf737871, v8
	v_add_f32_e32 v8, v47, v16
	v_fmac_f32_e32 v41, 0x3f167918, v18
	v_mul_f32_e32 v18, 0x3f4f1bbd, v25
	v_sub_f32_e32 v0, v10, v14
	v_fmac_f32_e32 v28, 0x3e9e377a, v4
	v_sub_f32_e32 v4, v26, v34
	v_fmac_f32_e32 v30, 0xbf167918, v11
	v_mul_f32_e32 v25, 0xbf167918, v25
	v_add_f32_e32 v8, v48, v8
	v_add_f32_e32 v10, v10, v14
	;; [unrolled: 1-line block ×3, first 2 shown]
	v_mov_b32_e32 v26, s11
	v_fmac_f32_e32 v30, 0x3e9e377a, v6
	v_fmac_f32_e32 v25, 0x3f4f1bbd, v12
	v_add_f32_e32 v8, v37, v8
	v_addc_co_u32_e32 v23, vcc, v26, v23, vcc
	v_sub_f32_e32 v6, v30, v25
	v_add_f32_e32 v33, v33, v8
	v_add_f32_e32 v8, v49, v53
	;; [unrolled: 1-line block ×3, first 2 shown]
	v_mov_b32_e32 v25, 0
	v_add_co_u32_e32 v22, vcc, v22, v20
	v_fmac_f32_e32 v44, 0x3e9e377a, v42
	v_add_f32_e32 v8, v50, v8
	v_addc_co_u32_e32 v23, vcc, v23, v21, vcc
	v_lshlrev_b64 v[20:21], 3, v[24:25]
	v_fmac_f32_e32 v27, 0x3e9e377a, v31
	v_fmac_f32_e32 v41, 0x3e9e377a, v39
	;; [unrolled: 1-line block ×3, first 2 shown]
	v_mul_f32_e32 v31, 0xbf737871, v44
	v_add_f32_e32 v8, v52, v8
	v_fmac_f32_e32 v38, 0xbf167918, v7
	v_mul_f32_e32 v45, 0xbe9e377a, v44
	v_fmac_f32_e32 v36, 0x3f167918, v7
	v_mul_f32_e32 v39, 0x3e9e377a, v43
	v_fmac_f32_e32 v18, 0x3f167918, v12
	v_fmac_f32_e32 v31, 0xbe9e377a, v41
	v_add_f32_e32 v37, v51, v8
	v_add_co_u32_e32 v20, vcc, v22, v20
	v_fmac_f32_e32 v38, 0x3e9e377a, v5
	v_fmac_f32_e32 v45, 0x3f737871, v41
	;; [unrolled: 1-line block ×4, first 2 shown]
	v_sub_f32_e32 v7, v32, v18
	v_sub_f32_e32 v9, v19, v29
	v_add_f32_e32 v17, v32, v18
	v_add_f32_e32 v19, v19, v29
	;; [unrolled: 1-line block ×4, first 2 shown]
	v_addc_co_u32_e32 v21, vcc, v23, v21, vcc
	v_add_f32_e32 v13, v38, v45
	v_add_f32_e32 v15, v36, v39
	global_store_dwordx2 v[20:21], v[18:19], off
	global_store_dwordx2 v[20:21], v[16:17], off offset:1144
	global_store_dwordx2 v[20:21], v[14:15], off offset:2288
	;; [unrolled: 1-line block ×3, first 2 shown]
	v_add_co_u32_e32 v12, vcc, s0, v20
	v_add_f32_e32 v11, v27, v35
	v_addc_co_u32_e32 v13, vcc, 0, v21, vcc
	v_sub_f32_e32 v5, v36, v39
	v_sub_f32_e32 v8, v33, v37
	global_store_dwordx2 v[12:13], v[10:11], off offset:480
	global_store_dwordx2 v[12:13], v[8:9], off offset:1624
	;; [unrolled: 1-line block ×4, first 2 shown]
	v_add_co_u32_e32 v4, vcc, 0x2000, v20
	v_sub_f32_e32 v3, v38, v45
	v_sub_f32_e32 v2, v28, v31
	v_addc_co_u32_e32 v5, vcc, 0, v21, vcc
	v_sub_f32_e32 v1, v27, v35
	global_store_dwordx2 v[4:5], v[2:3], off offset:960
	global_store_dwordx2 v[4:5], v[0:1], off offset:2104
.LBB0_21:
	s_endpgm
	.section	.rodata,"a",@progbits
	.p2align	6, 0x0
	.amdhsa_kernel fft_rtc_back_len1430_factors_13_11_10_wgs_143_tpt_143_sp_op_CI_CI_unitstride_sbrr_dirReg
		.amdhsa_group_segment_fixed_size 0
		.amdhsa_private_segment_fixed_size 0
		.amdhsa_kernarg_size 104
		.amdhsa_user_sgpr_count 6
		.amdhsa_user_sgpr_private_segment_buffer 1
		.amdhsa_user_sgpr_dispatch_ptr 0
		.amdhsa_user_sgpr_queue_ptr 0
		.amdhsa_user_sgpr_kernarg_segment_ptr 1
		.amdhsa_user_sgpr_dispatch_id 0
		.amdhsa_user_sgpr_flat_scratch_init 0
		.amdhsa_user_sgpr_private_segment_size 0
		.amdhsa_uses_dynamic_stack 0
		.amdhsa_system_sgpr_private_segment_wavefront_offset 0
		.amdhsa_system_sgpr_workgroup_id_x 1
		.amdhsa_system_sgpr_workgroup_id_y 0
		.amdhsa_system_sgpr_workgroup_id_z 0
		.amdhsa_system_sgpr_workgroup_info 0
		.amdhsa_system_vgpr_workitem_id 0
		.amdhsa_next_free_vgpr 94
		.amdhsa_next_free_sgpr 28
		.amdhsa_reserve_vcc 1
		.amdhsa_reserve_flat_scratch 0
		.amdhsa_float_round_mode_32 0
		.amdhsa_float_round_mode_16_64 0
		.amdhsa_float_denorm_mode_32 3
		.amdhsa_float_denorm_mode_16_64 3
		.amdhsa_dx10_clamp 1
		.amdhsa_ieee_mode 1
		.amdhsa_fp16_overflow 0
		.amdhsa_exception_fp_ieee_invalid_op 0
		.amdhsa_exception_fp_denorm_src 0
		.amdhsa_exception_fp_ieee_div_zero 0
		.amdhsa_exception_fp_ieee_overflow 0
		.amdhsa_exception_fp_ieee_underflow 0
		.amdhsa_exception_fp_ieee_inexact 0
		.amdhsa_exception_int_div_zero 0
	.end_amdhsa_kernel
	.text
.Lfunc_end0:
	.size	fft_rtc_back_len1430_factors_13_11_10_wgs_143_tpt_143_sp_op_CI_CI_unitstride_sbrr_dirReg, .Lfunc_end0-fft_rtc_back_len1430_factors_13_11_10_wgs_143_tpt_143_sp_op_CI_CI_unitstride_sbrr_dirReg
                                        ; -- End function
	.section	.AMDGPU.csdata,"",@progbits
; Kernel info:
; codeLenInByte = 8284
; NumSgprs: 32
; NumVgprs: 94
; ScratchSize: 0
; MemoryBound: 0
; FloatMode: 240
; IeeeMode: 1
; LDSByteSize: 0 bytes/workgroup (compile time only)
; SGPRBlocks: 3
; VGPRBlocks: 23
; NumSGPRsForWavesPerEU: 32
; NumVGPRsForWavesPerEU: 94
; Occupancy: 2
; WaveLimiterHint : 1
; COMPUTE_PGM_RSRC2:SCRATCH_EN: 0
; COMPUTE_PGM_RSRC2:USER_SGPR: 6
; COMPUTE_PGM_RSRC2:TRAP_HANDLER: 0
; COMPUTE_PGM_RSRC2:TGID_X_EN: 1
; COMPUTE_PGM_RSRC2:TGID_Y_EN: 0
; COMPUTE_PGM_RSRC2:TGID_Z_EN: 0
; COMPUTE_PGM_RSRC2:TIDIG_COMP_CNT: 0
	.type	__hip_cuid_d222a5c49edf744f,@object ; @__hip_cuid_d222a5c49edf744f
	.section	.bss,"aw",@nobits
	.globl	__hip_cuid_d222a5c49edf744f
__hip_cuid_d222a5c49edf744f:
	.byte	0                               ; 0x0
	.size	__hip_cuid_d222a5c49edf744f, 1

	.ident	"AMD clang version 19.0.0git (https://github.com/RadeonOpenCompute/llvm-project roc-6.4.0 25133 c7fe45cf4b819c5991fe208aaa96edf142730f1d)"
	.section	".note.GNU-stack","",@progbits
	.addrsig
	.addrsig_sym __hip_cuid_d222a5c49edf744f
	.amdgpu_metadata
---
amdhsa.kernels:
  - .args:
      - .actual_access:  read_only
        .address_space:  global
        .offset:         0
        .size:           8
        .value_kind:     global_buffer
      - .offset:         8
        .size:           8
        .value_kind:     by_value
      - .actual_access:  read_only
        .address_space:  global
        .offset:         16
        .size:           8
        .value_kind:     global_buffer
      - .actual_access:  read_only
        .address_space:  global
        .offset:         24
        .size:           8
        .value_kind:     global_buffer
      - .actual_access:  read_only
        .address_space:  global
        .offset:         32
        .size:           8
        .value_kind:     global_buffer
      - .offset:         40
        .size:           8
        .value_kind:     by_value
      - .actual_access:  read_only
        .address_space:  global
        .offset:         48
        .size:           8
        .value_kind:     global_buffer
      - .actual_access:  read_only
        .address_space:  global
        .offset:         56
        .size:           8
        .value_kind:     global_buffer
      - .offset:         64
        .size:           4
        .value_kind:     by_value
      - .actual_access:  read_only
        .address_space:  global
        .offset:         72
        .size:           8
        .value_kind:     global_buffer
      - .actual_access:  read_only
        .address_space:  global
        .offset:         80
        .size:           8
        .value_kind:     global_buffer
      - .actual_access:  read_only
        .address_space:  global
        .offset:         88
        .size:           8
        .value_kind:     global_buffer
      - .actual_access:  write_only
        .address_space:  global
        .offset:         96
        .size:           8
        .value_kind:     global_buffer
    .group_segment_fixed_size: 0
    .kernarg_segment_align: 8
    .kernarg_segment_size: 104
    .language:       OpenCL C
    .language_version:
      - 2
      - 0
    .max_flat_workgroup_size: 143
    .name:           fft_rtc_back_len1430_factors_13_11_10_wgs_143_tpt_143_sp_op_CI_CI_unitstride_sbrr_dirReg
    .private_segment_fixed_size: 0
    .sgpr_count:     32
    .sgpr_spill_count: 0
    .symbol:         fft_rtc_back_len1430_factors_13_11_10_wgs_143_tpt_143_sp_op_CI_CI_unitstride_sbrr_dirReg.kd
    .uniform_work_group_size: 1
    .uses_dynamic_stack: false
    .vgpr_count:     94
    .vgpr_spill_count: 0
    .wavefront_size: 64
amdhsa.target:   amdgcn-amd-amdhsa--gfx906
amdhsa.version:
  - 1
  - 2
...

	.end_amdgpu_metadata
